;; amdgpu-corpus repo=ROCm/rocFFT kind=compiled arch=gfx906 opt=O3
	.text
	.amdgcn_target "amdgcn-amd-amdhsa--gfx906"
	.amdhsa_code_object_version 6
	.protected	fft_rtc_back_len168_factors_2_3_4_7_wgs_140_tpt_14_dim2_sp_ip_CI_sbcc_twdbase8_2step_dirReg_intrinsicReadWrite ; -- Begin function fft_rtc_back_len168_factors_2_3_4_7_wgs_140_tpt_14_dim2_sp_ip_CI_sbcc_twdbase8_2step_dirReg_intrinsicReadWrite
	.globl	fft_rtc_back_len168_factors_2_3_4_7_wgs_140_tpt_14_dim2_sp_ip_CI_sbcc_twdbase8_2step_dirReg_intrinsicReadWrite
	.p2align	8
	.type	fft_rtc_back_len168_factors_2_3_4_7_wgs_140_tpt_14_dim2_sp_ip_CI_sbcc_twdbase8_2step_dirReg_intrinsicReadWrite,@function
fft_rtc_back_len168_factors_2_3_4_7_wgs_140_tpt_14_dim2_sp_ip_CI_sbcc_twdbase8_2step_dirReg_intrinsicReadWrite: ; @fft_rtc_back_len168_factors_2_3_4_7_wgs_140_tpt_14_dim2_sp_ip_CI_sbcc_twdbase8_2step_dirReg_intrinsicReadWrite
; %bb.0:
	s_load_dwordx4 s[0:3], s[4:5], 0x10
	s_mov_b32 s7, 0
	s_waitcnt lgkmcnt(0)
	s_load_dwordx2 s[10:11], s[0:1], 0x8
	s_load_dwordx2 s[14:15], s[4:5], 0x0
	;; [unrolled: 1-line block ×4, first 2 shown]
	s_waitcnt lgkmcnt(0)
	s_add_u32 s0, s10, -1
	s_addc_u32 s1, s11, -1
	s_add_u32 s13, 0, 0x99986000
	s_addc_u32 s16, 0, 0x59
	s_add_i32 s16, s16, 0x19999940
	s_mul_hi_u32 s20, s13, -10
	s_sub_i32 s20, s20, s13
	s_mul_i32 s21, s16, -10
	s_mul_i32 s17, s13, -10
	s_add_i32 s20, s20, s21
	s_mul_hi_u32 s18, s16, s17
	s_mul_i32 s19, s16, s17
	s_mul_i32 s22, s13, s20
	s_mul_hi_u32 s17, s13, s17
	s_mul_hi_u32 s21, s13, s20
	s_add_u32 s17, s17, s22
	s_addc_u32 s21, 0, s21
	s_add_u32 s17, s17, s19
	s_mul_hi_u32 s22, s16, s20
	s_addc_u32 s17, s21, s18
	s_addc_u32 s18, s22, 0
	s_mul_i32 s19, s16, s20
	s_add_u32 s17, s17, s19
	v_mov_b32_e32 v1, s17
	s_addc_u32 s18, 0, s18
	v_add_co_u32_e32 v1, vcc, s13, v1
	s_cmp_lg_u64 vcc, 0
	s_addc_u32 s13, s16, s18
	v_readfirstlane_b32 s18, v1
	s_mul_i32 s17, s0, s13
	s_mul_hi_u32 s19, s0, s18
	s_mul_hi_u32 s16, s0, s13
	s_add_u32 s17, s19, s17
	s_addc_u32 s16, 0, s16
	s_mul_hi_u32 s20, s1, s18
	s_mul_i32 s18, s1, s18
	s_add_u32 s17, s17, s18
	s_mul_hi_u32 s19, s1, s13
	s_addc_u32 s16, s16, s20
	s_addc_u32 s17, s19, 0
	s_mul_i32 s13, s1, s13
	s_add_u32 s13, s16, s13
	s_addc_u32 s16, 0, s17
	s_add_u32 s17, s13, 1
	s_addc_u32 s18, s16, 0
	s_add_u32 s19, s13, 2
	s_mul_i32 s21, s16, 10
	s_mul_hi_u32 s22, s13, 10
	s_addc_u32 s20, s16, 0
	s_add_i32 s22, s22, s21
	s_mul_i32 s21, s13, 10
	v_mov_b32_e32 v1, s21
	v_sub_co_u32_e32 v1, vcc, s0, v1
	s_cmp_lg_u64 vcc, 0
	s_subb_u32 s0, s1, s22
	v_subrev_co_u32_e32 v2, vcc, 10, v1
	s_cmp_lg_u64 vcc, 0
	s_subb_u32 s1, s0, 0
	v_readfirstlane_b32 s21, v2
	s_cmp_gt_u32 s21, 9
	s_cselect_b32 s21, -1, 0
	s_cmp_eq_u32 s1, 0
	s_cselect_b32 s1, s21, -1
	s_cmp_lg_u32 s1, 0
	s_cselect_b32 s1, s19, s17
	s_cselect_b32 s17, s20, s18
	v_readfirstlane_b32 s18, v1
	s_cmp_gt_u32 s18, 9
	s_cselect_b32 s18, -1, 0
	s_cmp_eq_u32 s0, 0
	s_cselect_b32 s0, s18, -1
	s_cmp_lg_u32 s0, 0
	s_cselect_b32 s0, s1, s13
	s_cselect_b32 s16, s17, s16
	s_add_u32 s0, s0, 1
	s_addc_u32 s1, s16, 0
	v_mov_b32_e32 v2, s1
	v_mov_b32_e32 v1, s0
	v_cmp_lt_u64_e32 vcc, s[6:7], v[1:2]
	s_mov_b64 s[16:17], 0
	s_cbranch_vccnz .LBB0_2
; %bb.1:
	v_cvt_f32_u32_e32 v1, s0
	s_sub_i32 s7, 0, s0
	v_rcp_iflag_f32_e32 v1, v1
	v_mul_f32_e32 v1, 0x4f7ffffe, v1
	v_cvt_u32_f32_e32 v1, v1
	v_readfirstlane_b32 s13, v1
	s_mul_i32 s7, s7, s13
	s_mul_hi_u32 s7, s13, s7
	s_add_i32 s13, s13, s7
	s_mul_hi_u32 s7, s6, s13
	s_mul_i32 s16, s7, s0
	s_sub_i32 s16, s6, s16
	s_add_i32 s13, s7, 1
	s_sub_i32 s17, s16, s0
	s_cmp_ge_u32 s16, s0
	s_cselect_b32 s7, s13, s7
	s_cselect_b32 s16, s17, s16
	s_add_i32 s13, s7, 1
	s_cmp_ge_u32 s16, s0
	s_cselect_b32 s16, s13, s7
.LBB0_2:
	s_mul_i32 s1, s16, s1
	s_mul_hi_u32 s7, s16, s0
	s_add_i32 s7, s7, s1
	s_mul_i32 s0, s16, s0
	s_sub_u32 s6, s6, s0
	s_load_dwordx4 s[0:3], s[2:3], 0x8
	s_subb_u32 s7, 0, s7
	s_waitcnt lgkmcnt(0)
	s_mul_i32 s3, s6, 10
	v_mul_u32_u24_e32 v30, 0x199a, v0
	s_mul_i32 s7, s7, 10
	s_mul_hi_u32 s1, s6, 10
	s_mul_i32 s6, s3, s0
	s_mul_i32 s2, s2, s16
	v_lshrrev_b32_e32 v33, 16, v30
	s_add_i32 s1, s1, s7
	s_add_i32 s6, s2, s6
	v_mul_lo_u16_e32 v1, 10, v33
	v_sub_u16_e32 v31, v0, v1
	s_add_u32 s2, s3, 10
	v_mov_b32_e32 v1, s1
	v_add_co_u32_e32 v23, vcc, s3, v31
	s_addc_u32 s3, s1, 0
	v_mad_u64_u32 v[21:22], s[0:1], s0, v31, 0
	v_mul_lo_u32 v3, s12, v33
	v_addc_co_u32_e32 v24, vcc, 0, v1, vcc
	v_mov_b32_e32 v1, s10
	v_mov_b32_e32 v2, s11
	v_add_u32_e32 v22, 14, v33
	v_cmp_le_u64_e32 vcc, s[2:3], v[1:2]
	v_add_lshl_u32 v1, v21, v3, 3
	v_mul_lo_u32 v2, s12, v22
	v_add_u32_e32 v3, 0x62, v33
	v_mul_lo_u32 v3, s12, v3
	v_cmp_gt_u64_e64 s[0:1], s[10:11], v[23:24]
	v_add_lshl_u32 v2, v21, v2, 3
	s_or_b64 s[2:3], vcc, s[0:1]
	v_cndmask_b32_e64 v7, -1, v2, s[2:3]
	v_add_lshl_u32 v2, v21, v3, 3
	v_add_u32_e32 v3, 0x70, v33
	v_mul_lo_u32 v10, s12, v3
	v_cndmask_b32_e64 v8, -1, v2, s[2:3]
	v_add_u32_e32 v2, 28, v33
	s_lshl_b32 s13, s6, 3
	s_mov_b32 s11, 0x20000
	s_mov_b32 s10, -2
	v_mul_lo_u32 v9, s12, v2
	v_add_u32_e32 v32, 42, v33
	buffer_load_dwordx2 v[3:4], v7, s[8:11], s13 offen
	buffer_load_dwordx2 v[5:6], v8, s[8:11], s13 offen
	v_add_lshl_u32 v8, v21, v10, 3
	v_mul_lo_u32 v10, s12, v32
	v_add_lshl_u32 v7, v21, v9, 3
	v_add_u32_e32 v9, 0x7e, v33
	v_cndmask_b32_e64 v15, -1, v7, s[2:3]
	v_add_lshl_u32 v7, v21, v10, 3
	v_mul_lo_u32 v9, s12, v9
	v_cndmask_b32_e64 v17, -1, v7, s[2:3]
	v_add_u32_e32 v7, 0x54, v33
	v_mul_lo_u32 v19, s12, v7
	v_cndmask_b32_e64 v16, -1, v8, s[2:3]
	v_add_lshl_u32 v8, v21, v9, 3
	v_cndmask_b32_e64 v18, -1, v8, s[2:3]
	buffer_load_dwordx2 v[7:8], v15, s[8:11], s13 offen
	buffer_load_dwordx2 v[9:10], v16, s[8:11], s13 offen
	;; [unrolled: 1-line block ×4, first 2 shown]
	v_add_lshl_u32 v15, v21, v19, 3
	v_cndmask_b32_e64 v1, -1, v1, s[2:3]
	v_cndmask_b32_e64 v17, -1, v15, s[2:3]
	v_add_u32_e32 v18, 0x9a, v33
	buffer_load_dwordx2 v[15:16], v1, s[8:11], s13 offen
	v_mul_lo_u32 v19, s12, v18
	buffer_load_dwordx2 v[17:18], v17, s[8:11], s13 offen
	v_add_u32_e32 v1, 0x46, v33
	v_mul_lo_u32 v1, s12, v1
	v_add_u32_e32 v34, 56, v33
	v_mul_lo_u32 v24, s12, v34
	v_add_u32_e32 v25, 0x8c, v33
	v_mul_lo_u32 v26, s12, v25
	v_add_lshl_u32 v1, v21, v1, 3
	v_add_lshl_u32 v19, v21, v19, 3
	v_cndmask_b32_e64 v1, -1, v1, s[2:3]
	v_cndmask_b32_e64 v19, -1, v19, s[2:3]
	v_add_lshl_u32 v24, v21, v24, 3
	buffer_load_dwordx2 v[19:20], v19, s[8:11], s13 offen
	v_cndmask_b32_e64 v35, -1, v24, s[2:3]
	buffer_load_dwordx2 v[24:25], v1, s[8:11], s13 offen
	v_add_lshl_u32 v1, v21, v26, 3
	v_cndmask_b32_e64 v1, -1, v1, s[2:3]
	buffer_load_dwordx2 v[26:27], v35, s[8:11], s13 offen
	buffer_load_dwordx2 v[28:29], v1, s[8:11], s13 offen
	v_mul_u32_u24_e32 v35, 0xa0, v33
	v_lshlrev_b32_e32 v1, 3, v31
	v_add3_u32 v31, 0, v35, v1
	v_add_u32_e32 v35, 0x800, v31
	s_movk_i32 s6, 0x2300
	s_movk_i32 s18, 0x64
	s_waitcnt vmcnt(10)
	v_sub_f32_e32 v5, v3, v5
	v_sub_f32_e32 v6, v4, v6
	v_fma_f32 v3, v3, 2.0, -v5
	v_fma_f32 v4, v4, 2.0, -v6
	ds_write2_b64 v35, v[3:4], v[5:6] offset0:24 offset1:34
	s_waitcnt vmcnt(8)
	v_sub_f32_e32 v3, v7, v9
	v_sub_f32_e32 v4, v8, v10
	v_fma_f32 v5, v7, 2.0, -v3
	v_fma_f32 v6, v8, 2.0, -v4
	v_add_u32_e32 v7, 0x1000, v31
	ds_write2_b64 v7, v[5:6], v[3:4] offset0:48 offset1:58
	s_waitcnt vmcnt(4)
	v_sub_f32_e32 v3, v15, v17
	v_sub_f32_e32 v4, v16, v18
	v_fma_f32 v5, v15, 2.0, -v3
	v_fma_f32 v6, v16, 2.0, -v4
	ds_write2_b64 v31, v[5:6], v[3:4] offset1:10
	v_sub_f32_e32 v5, v11, v13
	v_sub_f32_e32 v6, v12, v14
	v_fma_f32 v3, v11, 2.0, -v5
	v_fma_f32 v4, v12, 2.0, -v6
	ds_write_b64 v31, v[3:4] offset:6720
	v_add_u32_e32 v3, 0x1800, v31
	ds_write2_b32 v3, v5, v6 offset0:164 offset1:165
	v_add_u32_e32 v11, 0x2000, v31
	v_bfe_u32 v18, v30, 16, 1
	s_waitcnt vmcnt(2)
	v_sub_f32_e32 v3, v24, v19
	v_sub_f32_e32 v4, v25, v20
	v_fma_f32 v5, v24, 2.0, -v3
	s_waitcnt vmcnt(0)
	v_sub_f32_e32 v7, v26, v28
	v_sub_f32_e32 v8, v27, v29
	v_fma_f32 v9, v26, 2.0, -v7
	v_fma_f32 v10, v27, 2.0, -v8
	v_fma_f32 v6, v25, 2.0, -v4
	ds_write2_b32 v11, v9, v10 offset0:192 offset1:193
	ds_write2_b32 v11, v7, v8 offset0:212 offset1:213
	v_add_u32_e32 v7, 0x2800, v31
	ds_write2_b64 v7, v[5:6], v[3:4] offset0:120 offset1:130
	v_lshlrev_b32_e32 v3, 4, v18
	s_waitcnt lgkmcnt(0)
	s_barrier
	global_load_dwordx4 v[3:6], v3, s[14:15]
	v_mul_u32_u24_e32 v7, 0x50, v33
	v_add3_u32 v9, 0, v7, v1
	v_add_u32_e32 v7, 0x1400, v9
	ds_read2_b64 v[10:13], v7 offset0:60 offset1:200
	v_mul_i32_i24_e32 v8, 0xffffffb0, v34
	v_add_u32_e32 v14, 0x2400, v9
	v_add_u32_e32 v19, 0x1c00, v9
	v_add3_u32 v20, v31, s6, v8
	ds_read2_b64 v[14:17], v14 offset0:108 offset1:248
	ds_read2_b64 v[24:27], v19 offset0:84 offset1:224
	ds_read_b64 v[7:8], v20
	v_cmp_gt_u32_e64 s[6:7], s18, v0
	s_waitcnt vmcnt(0) lgkmcnt(3)
	v_mul_f32_e32 v19, v4, v11
	v_mul_f32_e32 v28, v4, v10
	v_fmac_f32_e32 v19, v3, v10
	v_fma_f32 v28, v3, v11, -v28
	ds_read_b64 v[10:11], v9 offset:12320
	v_mul_f32_e32 v29, v4, v13
	v_mul_f32_e32 v31, v4, v12
	s_waitcnt lgkmcnt(2)
	v_mul_f32_e32 v40, v4, v25
	v_mul_f32_e32 v41, v4, v24
	s_waitcnt lgkmcnt(1)
	v_mul_f32_e32 v42, v4, v8
	v_mul_f32_e32 v4, v4, v7
	v_fmac_f32_e32 v29, v3, v12
	v_fma_f32 v31, v3, v13, -v31
	v_fmac_f32_e32 v40, v3, v24
	v_fma_f32 v24, v3, v25, -v41
	v_fmac_f32_e32 v42, v3, v7
	v_fma_f32 v7, v3, v8, -v4
	ds_read_b64 v[3:4], v9
	v_mul_f32_e32 v38, v6, v27
	v_mul_f32_e32 v34, v6, v15
	;; [unrolled: 1-line block ×6, first 2 shown]
	v_fmac_f32_e32 v38, v5, v26
	s_waitcnt lgkmcnt(1)
	v_mul_f32_e32 v25, v11, v6
	v_mul_f32_e32 v6, v10, v6
	v_fmac_f32_e32 v25, v10, v5
	v_fma_f32 v26, v11, v5, -v6
	v_add_f32_e32 v6, v42, v38
	v_add_u32_e32 v10, 0xfffff2e0, v20
	v_fmac_f32_e32 v34, v5, v14
	v_fma_f32 v35, v5, v15, -v35
	v_fmac_f32_e32 v36, v5, v16
	v_fma_f32 v17, v5, v17, -v37
	v_fma_f32 v12, v5, v27, -v39
	s_waitcnt lgkmcnt(0)
	v_add_f32_e32 v5, v3, v42
	v_fma_f32 v3, -0.5, v6, v3
	v_add_f32_e32 v6, v4, v7
	v_add_u32_e32 v11, 0x400, v10
	v_add_u32_e32 v13, 0x800, v10
	v_add_f32_e32 v6, v6, v12
	v_sub_f32_e32 v27, v7, v12
	v_add_f32_e32 v7, v7, v12
	ds_read2_b32 v[11:12], v11 offset0:24 offset1:25
	ds_read2_b32 v[13:14], v13 offset0:48 offset1:49
	ds_read2_b32 v[15:16], v10 offset1:1
	v_lshrrev_b32_e32 v20, 17, v30
	v_mul_u32_u24_e32 v20, 6, v20
	v_fmac_f32_e32 v4, -0.5, v7
	v_or_b32_e32 v20, v20, v18
	v_sub_f32_e32 v37, v42, v38
	v_mov_b32_e32 v7, v3
	v_mov_b32_e32 v8, v4
	v_mul_u32_u24_e32 v20, 0x50, v20
	v_add_f32_e32 v5, v5, v38
	v_fmac_f32_e32 v7, 0xbf5db3d7, v27
	v_fmac_f32_e32 v8, 0x3f5db3d7, v37
	v_add3_u32 v20, 0, v20, v1
	v_fmac_f32_e32 v3, 0x3f5db3d7, v27
	v_fmac_f32_e32 v4, 0xbf5db3d7, v37
	s_waitcnt lgkmcnt(0)
	s_barrier
	ds_write2_b64 v20, v[5:6], v[7:8] offset1:20
	ds_write_b64 v20, v[3:4] offset:320
	v_add_f32_e32 v3, v15, v19
	v_add_f32_e32 v4, v19, v34
	v_sub_f32_e32 v8, v19, v34
	v_lshrrev_b32_e32 v19, 1, v22
	v_mul_u32_u24_e32 v19, 6, v19
	v_add_f32_e32 v5, v28, v35
	v_or_b32_e32 v19, v19, v18
	v_fma_f32 v15, -0.5, v4, v15
	v_add_f32_e32 v4, v16, v28
	v_sub_f32_e32 v7, v28, v35
	v_fmac_f32_e32 v16, -0.5, v5
	v_mul_u32_u24_e32 v19, 0x50, v19
	v_mov_b32_e32 v5, v15
	v_mov_b32_e32 v6, v16
	v_add3_u32 v19, 0, v19, v1
	v_fmac_f32_e32 v15, 0x3f5db3d7, v7
	v_fmac_f32_e32 v16, 0xbf5db3d7, v8
	v_add_f32_e32 v3, v3, v34
	v_add_f32_e32 v4, v4, v35
	v_fmac_f32_e32 v5, 0xbf5db3d7, v7
	v_fmac_f32_e32 v6, 0x3f5db3d7, v8
	ds_write_b64 v19, v[15:16] offset:320
	v_lshrrev_b32_e32 v15, 1, v2
	ds_write2_b64 v19, v[3:4], v[5:6] offset1:20
	v_add_f32_e32 v4, v29, v36
	v_add_f32_e32 v5, v31, v17
	v_mul_u32_u24_e32 v15, 6, v15
	v_add_f32_e32 v3, v11, v29
	v_fma_f32 v11, -0.5, v4, v11
	v_add_f32_e32 v4, v12, v31
	v_fmac_f32_e32 v12, -0.5, v5
	v_or_b32_e32 v15, v15, v18
	v_sub_f32_e32 v7, v31, v17
	v_sub_f32_e32 v8, v29, v36
	v_mov_b32_e32 v5, v11
	v_mov_b32_e32 v6, v12
	v_mul_u32_u24_e32 v15, 0x50, v15
	v_add_f32_e32 v3, v3, v36
	v_add_f32_e32 v4, v4, v17
	v_fmac_f32_e32 v5, 0xbf5db3d7, v7
	v_fmac_f32_e32 v6, 0x3f5db3d7, v8
	v_add3_u32 v15, 0, v15, v1
	ds_write2_b64 v15, v[3:4], v[5:6] offset1:20
	v_add_f32_e32 v3, v40, v25
	v_add_f32_e32 v4, v13, v40
	v_fma_f32 v13, -0.5, v3, v13
	v_sub_f32_e32 v5, v24, v26
	v_mov_b32_e32 v3, v13
	v_fmac_f32_e32 v3, 0xbf5db3d7, v5
	v_fmac_f32_e32 v13, 0x3f5db3d7, v5
	v_add_f32_e32 v5, v4, v25
	v_add_f32_e32 v4, v14, v24
	;; [unrolled: 1-line block ×4, first 2 shown]
	v_fmac_f32_e32 v14, -0.5, v4
	v_fmac_f32_e32 v11, 0x3f5db3d7, v7
	v_sub_f32_e32 v7, v40, v25
	v_mov_b32_e32 v4, v14
	v_fmac_f32_e32 v4, 0x3f5db3d7, v7
	v_fmac_f32_e32 v14, 0xbf5db3d7, v7
	v_lshrrev_b32_e32 v7, 1, v32
	v_mul_u32_u24_e32 v7, 6, v7
	v_or_b32_e32 v7, v7, v18
	v_mul_u32_u24_e32 v7, 0x50, v7
	v_fmac_f32_e32 v12, 0xbf5db3d7, v8
	v_add3_u32 v7, 0, v7, v1
	ds_write_b64 v15, v[11:12] offset:320
	ds_write2_b64 v7, v[5:6], v[3:4] offset1:20
	ds_write_b64 v7, v[13:14] offset:320
	v_mul_lo_u16_e32 v20, 43, v33
	v_mov_b32_e32 v3, 6
	v_mul_lo_u16_sdwa v3, v20, v3 dst_sel:DWORD dst_unused:UNUSED_PAD src0_sel:BYTE_1 src1_sel:DWORD
	v_sub_u16_e32 v36, v33, v3
	v_mov_b32_e32 v32, 3
	v_mul_u32_u24_sdwa v3, v36, v32 dst_sel:DWORD dst_unused:UNUSED_PAD src0_sel:BYTE_0 src1_sel:DWORD
	v_lshlrev_b32_e32 v11, 3, v3
	s_waitcnt lgkmcnt(0)
	s_barrier
	global_load_dwordx4 v[3:6], v11, s[14:15] offset:32
	v_mul_lo_u16_e32 v7, 0xab, v22
	v_lshrrev_b16_e32 v37, 10, v7
	v_mul_lo_u16_e32 v7, 6, v37
	v_sub_u16_e32 v38, v22, v7
	v_mul_u32_u24_sdwa v7, v38, v32 dst_sel:DWORD dst_unused:UNUSED_PAD src0_sel:BYTE_0 src1_sel:DWORD
	v_lshlrev_b32_e32 v24, 3, v7
	global_load_dwordx4 v[12:15], v24, s[14:15] offset:32
	v_mul_lo_u16_e32 v7, 0xab, v2
	v_lshrrev_b16_e32 v39, 10, v7
	v_mul_lo_u16_e32 v7, 6, v39
	v_sub_u16_e32 v40, v2, v7
	v_mul_u32_u24_sdwa v2, v40, v32 dst_sel:DWORD dst_unused:UNUSED_PAD src0_sel:BYTE_0 src1_sel:DWORD
	v_lshlrev_b32_e32 v2, 3, v2
	global_load_dwordx4 v[16:19], v2, s[14:15] offset:32
	global_load_dwordx2 v[7:8], v11, s[14:15] offset:48
	global_load_dwordx2 v[28:29], v24, s[14:15] offset:48
	;; [unrolled: 1-line block ×3, first 2 shown]
	ds_read_b64 v[34:35], v10 offset:2240
	v_add_u32_e32 v2, 0x1800, v9
	ds_read2_b64 v[24:27], v2 offset0:72 offset1:212
	v_add_u32_e32 v11, 0x1000, v9
	s_waitcnt vmcnt(5) lgkmcnt(1)
	v_mul_f32_e32 v41, v4, v35
	v_mul_f32_e32 v2, v4, v34
	v_fmac_f32_e32 v41, v3, v34
	v_fma_f32 v34, v3, v35, -v2
	s_waitcnt lgkmcnt(0)
	v_mul_f32_e32 v35, v6, v25
	v_mul_f32_e32 v2, v6, v24
	v_fmac_f32_e32 v35, v5, v24
	v_fma_f32 v6, v5, v25, -v2
	ds_read2_b64 v[2:5], v11 offset0:48 offset1:188
	s_waitcnt vmcnt(4)
	v_mul_f32_e32 v24, v15, v27
	v_fmac_f32_e32 v24, v14, v26
	v_mul_f32_e32 v15, v15, v26
	v_fma_f32 v25, v14, v27, -v15
	s_waitcnt lgkmcnt(0)
	v_mul_f32_e32 v26, v13, v3
	v_fmac_f32_e32 v26, v12, v2
	v_mul_f32_e32 v2, v13, v2
	v_fma_f32 v27, v12, v3, -v2
	v_add_u32_e32 v2, 0x2000, v9
	ds_read2_b64 v[12:15], v2 offset0:96 offset1:236
	s_waitcnt vmcnt(3)
	v_mul_f32_e32 v2, v4, v17
	v_fma_f32 v43, v5, v16, -v2
	v_mul_f32_e32 v42, v5, v17
	v_fmac_f32_e32 v42, v4, v16
	s_waitcnt lgkmcnt(0)
	v_mul_f32_e32 v44, v13, v19
	v_mul_f32_e32 v2, v12, v19
	v_fmac_f32_e32 v44, v12, v18
	v_fma_f32 v18, v13, v18, -v2
	v_add_u32_e32 v2, 0x2a00, v9
	ds_read2_b64 v[2:5], v2 offset0:56 offset1:196
	s_waitcnt vmcnt(2)
	v_mul_f32_e32 v12, v8, v15
	v_mul_f32_e32 v8, v8, v14
	v_fmac_f32_e32 v12, v7, v14
	v_fma_f32 v7, v7, v15, -v8
	s_waitcnt vmcnt(1) lgkmcnt(0)
	v_mul_f32_e32 v8, v3, v29
	v_fmac_f32_e32 v8, v2, v28
	v_mul_f32_e32 v2, v2, v29
	v_fma_f32 v19, v3, v28, -v2
	ds_read_b64 v[2:3], v9
	s_waitcnt vmcnt(0)
	v_mul_f32_e32 v28, v5, v31
	v_fmac_f32_e32 v28, v4, v30
	v_mul_f32_e32 v4, v4, v31
	v_sub_f32_e32 v12, v41, v12
	s_waitcnt lgkmcnt(0)
	v_sub_f32_e32 v13, v2, v35
	v_sub_f32_e32 v14, v3, v6
	;; [unrolled: 1-line block ×3, first 2 shown]
	v_fma_f32 v29, v5, v30, -v4
	v_fma_f32 v5, v3, 2.0, -v14
	v_fma_f32 v3, v34, 2.0, -v6
	v_add_f32_e32 v6, v13, v6
	v_sub_f32_e32 v7, v14, v12
	v_mov_b32_e32 v34, 24
	v_fma_f32 v4, v2, 2.0, -v13
	v_fma_f32 v2, v41, 2.0, -v12
	;; [unrolled: 1-line block ×4, first 2 shown]
	v_mul_u32_u24_sdwa v14, v20, v34 dst_sel:DWORD dst_unused:UNUSED_PAD src0_sel:BYTE_1 src1_sel:DWORD
	v_or_b32_sdwa v20, v14, v36 dst_sel:DWORD dst_unused:UNUSED_PAD src0_sel:DWORD src1_sel:BYTE_0
	ds_read_b32 v30, v10 offset:1120
	ds_read_b32 v31, v10
	ds_read_b32 v35, v10 offset:4
	ds_read_b64 v[14:15], v10
	ds_read_b32 v36, v10 offset:1124
	ds_read_b64 v[16:17], v10 offset:1120
	v_sub_f32_e32 v2, v4, v2
	v_sub_f32_e32 v3, v5, v3
	v_mul_u32_u24_e32 v20, 0x50, v20
	v_fma_f32 v4, v4, 2.0, -v2
	v_fma_f32 v5, v5, 2.0, -v3
	v_add3_u32 v20, 0, v20, v1
	s_waitcnt lgkmcnt(0)
	s_barrier
	ds_write2_b64 v20, v[4:5], v[12:13] offset1:60
	ds_write2_b64 v20, v[2:3], v[6:7] offset0:120 offset1:180
	v_sub_f32_e32 v7, v15, v25
	v_sub_f32_e32 v8, v26, v8
	;; [unrolled: 1-line block ×4, first 2 shown]
	v_fma_f32 v2, v26, 2.0, -v8
	v_sub_f32_e32 v25, v7, v8
	v_mul_u32_u24_e32 v8, 24, v37
	v_fma_f32 v4, v31, 2.0, -v6
	v_fma_f32 v5, v35, 2.0, -v7
	;; [unrolled: 1-line block ×3, first 2 shown]
	v_or_b32_sdwa v8, v8, v38 dst_sel:DWORD dst_unused:UNUSED_PAD src0_sel:DWORD src1_sel:BYTE_0
	v_sub_f32_e32 v2, v4, v2
	v_sub_f32_e32 v3, v5, v3
	v_add_f32_e32 v24, v6, v12
	v_mul_u32_u24_e32 v8, 0x50, v8
	v_fma_f32 v4, v4, 2.0, -v2
	v_fma_f32 v5, v5, 2.0, -v3
	;; [unrolled: 1-line block ×4, first 2 shown]
	v_add3_u32 v8, 0, v8, v1
	ds_write2_b64 v8, v[4:5], v[6:7] offset1:60
	ds_write2_b64 v8, v[2:3], v[24:25] offset0:120 offset1:180
	v_sub_f32_e32 v3, v17, v18
	v_sub_f32_e32 v12, v43, v29
	v_fma_f32 v7, v36, 2.0, -v3
	v_fma_f32 v6, v43, 2.0, -v12
	v_sub_f32_e32 v2, v16, v44
	v_sub_f32_e32 v6, v7, v6
	v_fma_f32 v29, v7, 2.0, -v6
	v_add_f32_e32 v7, v2, v12
	v_fma_f32 v4, v30, 2.0, -v2
	v_sub_f32_e32 v8, v42, v28
	v_fma_f32 v26, v2, 2.0, -v7
	v_mul_u32_u24_e32 v2, 24, v39
	v_fma_f32 v5, v42, 2.0, -v8
	v_or_b32_sdwa v2, v2, v40 dst_sel:DWORD dst_unused:UNUSED_PAD src0_sel:DWORD src1_sel:BYTE_0
	v_sub_f32_e32 v5, v4, v5
	v_sub_f32_e32 v8, v3, v8
	v_mul_u32_u24_e32 v2, 0x50, v2
	v_fma_f32 v28, v4, 2.0, -v5
	v_fma_f32 v27, v3, 2.0, -v8
	v_add3_u32 v1, 0, v2, v1
	ds_write2_b64 v1, v[28:29], v[26:27] offset1:60
	ds_write2_b64 v1, v[5:6], v[7:8] offset0:120 offset1:180
	v_add_u32_e32 v1, 0xf00, v9
	v_add_u32_e32 v2, 0x1e00, v9
	s_waitcnt lgkmcnt(0)
	s_barrier
	ds_read_b64 v[30:31], v9 offset:11520
	ds_read2_b64 v[17:20], v1 offset1:240
	ds_read2_b64 v[13:16], v2 offset1:240
	;; [unrolled: 1-line block ×3, first 2 shown]
                                        ; implicit-def: $vgpr12
	s_and_saveexec_b64 s[16:17], s[6:7]
	s_cbranch_execz .LBB0_4
; %bb.3:
	ds_read2_b32 v[24:25], v10 offset1:1
	ds_read_b64 v[28:29], v9 offset:3040
	ds_read2_b32 v[26:27], v11 offset0:216 offset1:217
	v_add_u32_e32 v5, 0x1a80, v9
	v_add_u32_e32 v9, 0x2980, v9
	ds_read2_b64 v[5:8], v5 offset0:12 offset1:252
	ds_read2_b64 v[9:12], v9 offset0:12 offset1:252
.LBB0_4:
	s_or_b64 exec, exec, s[16:17]
	v_mul_lo_u16_e32 v35, 11, v33
	v_mul_lo_u16_sdwa v34, v35, v34 dst_sel:DWORD dst_unused:UNUSED_PAD src0_sel:BYTE_1 src1_sel:DWORD
	v_sub_u16_e32 v33, v33, v34
	v_and_b32_e32 v34, 0xff, v33
	v_mul_u32_u24_e32 v33, 6, v34
	v_lshlrev_b32_e32 v52, 3, v33
	global_load_dwordx4 v[36:39], v52, s[14:15] offset:176
	global_load_dwordx4 v[40:43], v52, s[14:15] offset:192
	v_mul_lo_u16_e32 v33, 43, v22
	v_lshrrev_b16_e32 v33, 10, v33
	v_mul_lo_u16_e32 v35, 24, v33
	v_sub_u16_e32 v35, v22, v35
	v_and_b32_e32 v35, 0xff, v35
	v_mul_u32_u24_e32 v44, 6, v35
	v_lshlrev_b32_e32 v53, 3, v44
	global_load_dwordx4 v[44:47], v52, s[14:15] offset:208
	global_load_dwordx4 v[48:51], v53, s[14:15] offset:176
	s_mov_b32 s6, 0xbf5ff5aa
	s_mov_b32 s7, 0x3eae86e6
	s_load_dwordx2 s[4:5], s[4:5], 0x8
	s_waitcnt vmcnt(3) lgkmcnt(0)
	v_mul_f32_e32 v54, v39, v18
	v_mul_f32_e32 v52, v37, v4
	;; [unrolled: 1-line block ×4, first 2 shown]
	s_waitcnt vmcnt(2)
	v_mul_f32_e32 v55, v41, v20
	v_fmac_f32_e32 v54, v38, v17
	v_mul_f32_e32 v17, v41, v19
	v_fmac_f32_e32 v52, v36, v3
	v_fma_f32 v3, v36, v4, -v37
	v_fma_f32 v4, v38, v18, -v39
	v_fmac_f32_e32 v55, v40, v19
	v_fma_f32 v40, v40, v20, -v17
	global_load_dwordx4 v[17:20], v53, s[14:15] offset:192
	v_mul_f32_e32 v41, v43, v14
	v_mul_f32_e32 v36, v43, v13
	v_fmac_f32_e32 v41, v42, v13
	v_fma_f32 v13, v42, v14, -v36
	global_load_dwordx4 v[36:39], v53, s[14:15] offset:208
	s_waitcnt vmcnt(3)
	v_mul_f32_e32 v14, v45, v16
	v_mul_f32_e32 v42, v45, v15
	v_fmac_f32_e32 v14, v44, v15
	v_fma_f32 v15, v44, v16, -v42
	v_mul_f32_e32 v16, v47, v31
	v_mul_f32_e32 v42, v47, v30
	v_fmac_f32_e32 v16, v46, v30
	v_fma_f32 v30, v46, v31, -v42
	s_waitcnt vmcnt(2)
	v_mul_f32_e32 v42, v28, v49
	v_mul_f32_e32 v43, v27, v51
	;; [unrolled: 1-line block ×4, first 2 shown]
	v_fma_f32 v42, v29, v48, -v42
	v_fmac_f32_e32 v43, v26, v50
	v_fma_f32 v26, v27, v50, -v44
	v_fmac_f32_e32 v31, v28, v48
	s_mov_b32 s15, 0x3f3bfb3b
	s_mov_b32 s14, 0xbf3bfb3b
	s_waitcnt vmcnt(1)
	v_mul_f32_e32 v45, v6, v18
	v_mul_f32_e32 v46, v8, v20
	;; [unrolled: 1-line block ×4, first 2 shown]
	v_fmac_f32_e32 v45, v5, v17
	s_waitcnt vmcnt(0)
	v_mul_f32_e32 v47, v10, v37
	v_mul_f32_e32 v27, v12, v39
	;; [unrolled: 1-line block ×3, first 2 shown]
	v_fma_f32 v39, v8, v19, -v20
	v_add_f32_e32 v5, v52, v16
	v_add_f32_e32 v8, v54, v14
	v_mul_f32_e32 v28, v9, v37
	v_fma_f32 v37, v6, v17, -v18
	v_fmac_f32_e32 v46, v7, v19
	v_fmac_f32_e32 v47, v9, v36
	;; [unrolled: 1-line block ×3, first 2 shown]
	v_fma_f32 v19, v12, v38, -v29
	v_add_f32_e32 v6, v3, v30
	v_add_f32_e32 v9, v4, v15
	v_sub_f32_e32 v4, v4, v15
	v_add_f32_e32 v11, v55, v41
	v_add_f32_e32 v12, v40, v13
	v_sub_f32_e32 v13, v13, v40
	v_add_f32_e32 v15, v8, v5
	v_sub_f32_e32 v7, v52, v16
	v_sub_f32_e32 v3, v3, v30
	v_add_f32_e32 v16, v9, v6
	v_sub_f32_e32 v17, v8, v5
	v_sub_f32_e32 v5, v5, v11
	;; [unrolled: 1-line block ×3, first 2 shown]
	v_add_f32_e32 v29, v13, v4
	v_add_f32_e32 v11, v11, v15
	v_fma_f32 v18, v10, v36, -v28
	v_sub_f32_e32 v10, v54, v14
	v_sub_f32_e32 v14, v41, v55
	;; [unrolled: 1-line block ×8, first 2 shown]
	v_add_f32_e32 v12, v12, v16
	v_add_f32_e32 v15, v29, v3
	;; [unrolled: 1-line block ×4, first 2 shown]
	v_sub_f32_e32 v30, v14, v10
	v_sub_f32_e32 v10, v10, v7
	v_add_f32_e32 v2, v12, v2
	v_mov_b32_e32 v38, v3
	v_sub_f32_e32 v14, v7, v14
	v_add_f32_e32 v7, v28, v7
	v_mul_f32_e32 v1, 0x3f4a47b2, v5
	v_mul_f32_e32 v5, 0x3f4a47b2, v6
	;; [unrolled: 1-line block ×8, first 2 shown]
	v_fmac_f32_e32 v38, 0xbf955555, v11
	v_mov_b32_e32 v11, v2
	v_fmac_f32_e32 v11, 0xbf955555, v12
	v_fma_f32 v6, v17, s15, -v6
	v_fma_f32 v12, v20, s15, -v16
	;; [unrolled: 1-line block ×3, first 2 shown]
	v_fmac_f32_e32 v1, 0x3d64c772, v8
	v_fma_f32 v8, v20, s14, -v5
	v_fmac_f32_e32 v5, 0x3d64c772, v9
	v_fma_f32 v17, v10, s6, -v28
	;; [unrolled: 2-line block ×4, first 2 shown]
	v_fma_f32 v13, v13, s7, -v36
	v_add_f32_e32 v30, v5, v11
	v_add_f32_e32 v5, v6, v38
	;; [unrolled: 1-line block ×5, first 2 shown]
	v_fmac_f32_e32 v17, 0xbee1c552, v7
	v_fmac_f32_e32 v14, 0xbee1c552, v7
	;; [unrolled: 1-line block ×3, first 2 shown]
	v_add_f32_e32 v11, v13, v16
	v_sub_f32_e32 v10, v36, v14
	v_add_f32_e32 v12, v17, v6
	v_sub_f32_e32 v8, v6, v17
	v_sub_f32_e32 v6, v16, v13
	v_add_f32_e32 v13, v14, v36
	v_mul_lo_u32 v36, v23, v34
	v_add_f32_e32 v1, v1, v38
	v_fmac_f32_e32 v28, 0xbee1c552, v7
	v_fmac_f32_e32 v29, 0xbee1c552, v15
	;; [unrolled: 1-line block ×3, first 2 shown]
	v_lshlrev_b32_sdwa v41, v32, v36 dst_sel:DWORD dst_unused:UNUSED_PAD src0_sel:DWORD src1_sel:BYTE_0
	v_add_f32_e32 v9, v29, v1
	v_sub_f32_e32 v4, v30, v28
	v_sub_f32_e32 v7, v5, v20
	v_add_f32_e32 v5, v20, v5
	v_sub_f32_e32 v17, v1, v29
	v_add_f32_e32 v14, v28, v30
	v_add_f32_e32 v28, v31, v27
	v_sub_f32_e32 v1, v31, v27
	v_add_f32_e32 v31, v26, v18
	v_sub_f32_e32 v18, v26, v18
	;; [unrolled: 2-line block ×3, first 2 shown]
	v_lshlrev_b32_sdwa v36, v32, v36 dst_sel:DWORD dst_unused:UNUSED_PAD src0_sel:DWORD src1_sel:BYTE_1
	global_load_dwordx2 v[37:38], v41, s[4:5]
	global_load_dwordx2 v[39:40], v36, s[4:5] offset:2048
	v_add_u32_e32 v41, 24, v34
	v_mul_lo_u32 v41, v23, v41
	v_add_f32_e32 v29, v42, v19
	v_sub_f32_e32 v15, v42, v19
	v_add_f32_e32 v30, v43, v47
	v_lshlrev_b32_sdwa v52, v32, v41 dst_sel:DWORD dst_unused:UNUSED_PAD src0_sel:DWORD src1_sel:BYTE_0
	v_sub_f32_e32 v16, v43, v47
	v_lshlrev_b32_sdwa v53, v32, v41 dst_sel:DWORD dst_unused:UNUSED_PAD src0_sel:DWORD src1_sel:BYTE_1
	global_load_dwordx2 v[41:42], v52, s[4:5]
	global_load_dwordx2 v[43:44], v53, s[4:5] offset:2048
	v_add_f32_e32 v19, v45, v46
	v_sub_f32_e32 v27, v46, v45
	v_add_f32_e32 v46, v31, v29
	v_add_f32_e32 v45, v30, v28
	v_sub_f32_e32 v36, v31, v29
	v_sub_f32_e32 v29, v29, v20
	;; [unrolled: 1-line block ×3, first 2 shown]
	v_add_f32_e32 v20, v20, v46
	v_sub_f32_e32 v47, v30, v28
	v_sub_f32_e32 v28, v28, v19
	;; [unrolled: 1-line block ×3, first 2 shown]
	v_add_f32_e32 v45, v19, v45
	v_add_f32_e32 v19, v25, v20
	;; [unrolled: 1-line block ×3, first 2 shown]
	v_sub_f32_e32 v51, v26, v18
	v_sub_f32_e32 v52, v18, v15
	v_add_f32_e32 v18, v24, v45
	v_mul_f32_e32 v24, 0x3f4a47b2, v28
	v_mul_f32_e32 v25, 0x3f4a47b2, v29
	;; [unrolled: 1-line block ×4, first 2 shown]
	v_mov_b32_e32 v55, v19
	v_fmac_f32_e32 v55, 0xbf955555, v20
	v_fma_f32 v20, v47, s15, -v28
	v_fma_f32 v28, v36, s15, -v29
	v_add_u32_e32 v29, 48, v34
	v_mul_lo_u32 v29, v23, v29
	v_add_f32_e32 v48, v27, v16
	v_mov_b32_e32 v54, v18
	v_fma_f32 v56, v47, s14, -v24
	v_fmac_f32_e32 v24, 0x3d64c772, v30
	v_fma_f32 v30, v36, s14, -v25
	v_lshlrev_b32_sdwa v36, v32, v29 dst_sel:DWORD dst_unused:UNUSED_PAD src0_sel:DWORD src1_sel:BYTE_0
	v_sub_f32_e32 v50, v27, v16
	v_sub_f32_e32 v27, v1, v27
	;; [unrolled: 1-line block ×3, first 2 shown]
	v_add_f32_e32 v1, v48, v1
	v_fmac_f32_e32 v54, 0xbf955555, v45
	v_lshlrev_b32_sdwa v29, v32, v29 dst_sel:DWORD dst_unused:UNUSED_PAD src0_sel:DWORD src1_sel:BYTE_1
	global_load_dwordx2 v[45:46], v36, s[4:5]
	global_load_dwordx2 v[47:48], v29, s[4:5] offset:2048
	v_sub_f32_e32 v26, v15, v26
	v_add_f32_e32 v15, v49, v15
	v_mul_f32_e32 v49, 0x3f08b237, v50
	v_mul_f32_e32 v50, 0x3f08b237, v51
	;; [unrolled: 1-line block ×3, first 2 shown]
	v_fmac_f32_e32 v25, 0x3d64c772, v31
	v_fma_f32 v16, v16, s6, -v49
	v_fmac_f32_e32 v49, 0xbeae86e6, v27
	v_fma_f32 v51, v27, s7, -v51
	v_mul_f32_e32 v53, 0xbf5ff5aa, v52
	v_add_f32_e32 v57, v24, v54
	v_add_f32_e32 v58, v25, v55
	;; [unrolled: 1-line block ×3, first 2 shown]
	v_fmac_f32_e32 v49, 0xbee1c552, v1
	v_fmac_f32_e32 v16, 0xbee1c552, v1
	;; [unrolled: 1-line block ×3, first 2 shown]
	v_fma_f32 v52, v52, s6, -v50
	v_fmac_f32_e32 v50, 0xbeae86e6, v26
	v_fma_f32 v53, v26, s7, -v53
	v_sub_f32_e32 v36, v58, v49
	v_add_f32_e32 v28, v16, v24
	v_sub_f32_e32 v26, v24, v16
	v_add_f32_e32 v16, v49, v58
	v_add_f32_e32 v20, v20, v54
	v_fmac_f32_e32 v50, 0xbee1c552, v15
	v_fmac_f32_e32 v52, 0xbee1c552, v15
	v_add_f32_e32 v55, v30, v55
	v_fmac_f32_e32 v53, 0xbee1c552, v15
	v_add_f32_e32 v31, v50, v57
	v_sub_f32_e32 v27, v20, v52
	s_waitcnt vmcnt(4)
	v_mul_f32_e32 v1, v38, v40
	v_fma_f32 v49, v37, v39, -v1
	v_mul_f32_e32 v37, v37, v40
	v_add_u32_e32 v1, 0x48, v34
	v_fmac_f32_e32 v37, v38, v39
	v_mul_lo_u32 v38, v23, v1
	v_mul_f32_e32 v1, v2, v37
	v_fmac_f32_e32 v1, v3, v49
	v_mul_f32_e32 v3, v3, v37
	v_or_b32_e32 v37, 0x60, v34
	v_add_f32_e32 v25, v52, v20
	v_sub_f32_e32 v15, v57, v50
	v_lshlrev_b32_sdwa v50, v32, v38 dst_sel:DWORD dst_unused:UNUSED_PAD src0_sel:DWORD src1_sel:BYTE_0
	v_mul_lo_u32 v52, v23, v37
	v_fma_f32 v2, v2, v49, -v3
	v_add_u32_e32 v49, 0x78, v34
	v_sub_f32_e32 v30, v55, v51
	v_add_f32_e32 v24, v51, v55
	v_lshlrev_b32_sdwa v51, v32, v38 dst_sel:DWORD dst_unused:UNUSED_PAD src0_sel:DWORD src1_sel:BYTE_1
	global_load_dwordx2 v[37:38], v50, s[4:5]
	global_load_dwordx2 v[39:40], v51, s[4:5] offset:2048
	v_mul_lo_u32 v55, v23, v49
	v_add_f32_e32 v54, v56, v54
	v_add_f32_e32 v29, v53, v54
	v_sub_f32_e32 v20, v54, v53
	s_waitcnt vmcnt(4)
	v_mul_f32_e32 v3, v42, v44
	v_lshlrev_b32_sdwa v53, v32, v52 dst_sel:DWORD dst_unused:UNUSED_PAD src0_sel:DWORD src1_sel:BYTE_0
	v_lshlrev_b32_sdwa v54, v32, v52 dst_sel:DWORD dst_unused:UNUSED_PAD src0_sel:DWORD src1_sel:BYTE_1
	global_load_dwordx2 v[49:50], v53, s[4:5]
	global_load_dwordx2 v[51:52], v54, s[4:5] offset:2048
	v_fma_f32 v57, v41, v43, -v3
	v_mul_f32_e32 v53, v41, v44
	v_lshlrev_b32_sdwa v3, v32, v55 dst_sel:DWORD dst_unused:UNUSED_PAD src0_sel:DWORD src1_sel:BYTE_0
	v_fmac_f32_e32 v53, v42, v43
	v_lshlrev_b32_sdwa v54, v32, v55 dst_sel:DWORD dst_unused:UNUSED_PAD src0_sel:DWORD src1_sel:BYTE_1
	global_load_dwordx2 v[41:42], v3, s[4:5]
	global_load_dwordx2 v[43:44], v54, s[4:5] offset:2048
	v_add_u32_e32 v3, 0x90, v34
	v_mul_lo_u32 v54, v23, v3
	v_mul_f32_e32 v3, v4, v53
	v_mul_f32_e32 v53, v9, v53
	v_fma_f32 v4, v4, v57, -v53
	v_lshlrev_b32_sdwa v58, v32, v54 dst_sel:DWORD dst_unused:UNUSED_PAD src0_sel:DWORD src1_sel:BYTE_0
	v_lshlrev_b32_sdwa v59, v32, v54 dst_sel:DWORD dst_unused:UNUSED_PAD src0_sel:DWORD src1_sel:BYTE_1
	global_load_dwordx2 v[53:54], v58, s[4:5]
	global_load_dwordx2 v[55:56], v59, s[4:5] offset:2048
	v_fmac_f32_e32 v3, v9, v57
	s_waitcnt vmcnt(8)
	v_mul_f32_e32 v9, v46, v48
	v_fma_f32 v57, v45, v47, -v9
	v_mul_f32_e32 v45, v45, v48
	v_fmac_f32_e32 v45, v46, v47
	v_mul_lo_u32 v46, v23, v35
	v_mul_f32_e32 v9, v10, v45
	v_mul_f32_e32 v45, v11, v45
	v_fma_f32 v10, v10, v57, -v45
	v_lshlrev_b32_sdwa v58, v32, v46 dst_sel:DWORD dst_unused:UNUSED_PAD src0_sel:DWORD src1_sel:BYTE_0
	v_lshlrev_b32_sdwa v59, v32, v46 dst_sel:DWORD dst_unused:UNUSED_PAD src0_sel:DWORD src1_sel:BYTE_1
	global_load_dwordx2 v[45:46], v58, s[4:5]
	global_load_dwordx2 v[47:48], v59, s[4:5] offset:2048
	v_fmac_f32_e32 v9, v11, v57
	s_waitcnt vmcnt(8)
	v_mul_f32_e32 v11, v38, v40
	v_fma_f32 v57, v37, v39, -v11
	v_mul_f32_e32 v37, v37, v40
	v_fmac_f32_e32 v37, v38, v39
	v_mul_f32_e32 v11, v12, v37
	v_fmac_f32_e32 v11, v7, v57
	v_mul_f32_e32 v7, v7, v37
	v_fma_f32 v12, v12, v57, -v7
	s_waitcnt vmcnt(6)
	v_mul_f32_e32 v38, v49, v52
	v_mul_f32_e32 v7, v50, v52
	v_fmac_f32_e32 v38, v50, v51
	v_fma_f32 v37, v49, v51, -v7
	v_mul_f32_e32 v7, v8, v38
	v_fmac_f32_e32 v7, v5, v37
	v_mul_f32_e32 v5, v5, v38
	s_waitcnt vmcnt(4)
	v_mul_f32_e32 v38, v41, v44
	v_fma_f32 v8, v8, v37, -v5
	v_mul_f32_e32 v5, v42, v44
	v_fmac_f32_e32 v38, v42, v43
	v_fma_f32 v37, v41, v43, -v5
	v_mul_f32_e32 v5, v13, v38
	v_fmac_f32_e32 v5, v6, v37
	v_mul_f32_e32 v6, v6, v38
	v_fma_f32 v6, v13, v37, -v6
	s_waitcnt vmcnt(2)
	v_mul_f32_e32 v13, v54, v56
	v_fma_f32 v57, v53, v55, -v13
	v_add_u32_e32 v13, 24, v35
	v_mul_lo_u32 v37, v23, v13
	v_mul_f32_e32 v41, v53, v56
	v_fmac_f32_e32 v41, v54, v55
	v_mul_f32_e32 v13, v14, v41
	v_lshlrev_b32_sdwa v42, v32, v37 dst_sel:DWORD dst_unused:UNUSED_PAD src0_sel:DWORD src1_sel:BYTE_0
	v_lshlrev_b32_sdwa v43, v32, v37 dst_sel:DWORD dst_unused:UNUSED_PAD src0_sel:DWORD src1_sel:BYTE_1
	v_add_u32_e32 v37, 48, v35
	v_mul_lo_u32 v44, v23, v37
	v_fmac_f32_e32 v13, v17, v57
	v_mul_f32_e32 v17, v17, v41
	v_add_u32_e32 v41, 0x48, v35
	v_lshlrev_b32_sdwa v49, v32, v44 dst_sel:DWORD dst_unused:UNUSED_PAD src0_sel:DWORD src1_sel:BYTE_0
	global_load_dwordx2 v[37:38], v42, s[4:5]
	global_load_dwordx2 v[39:40], v43, s[4:5] offset:2048
	v_lshlrev_b32_sdwa v50, v32, v44 dst_sel:DWORD dst_unused:UNUSED_PAD src0_sel:DWORD src1_sel:BYTE_1
	v_mul_lo_u32 v51, v23, v41
	global_load_dwordx2 v[41:42], v49, s[4:5]
	global_load_dwordx2 v[43:44], v50, s[4:5] offset:2048
	s_waitcnt vmcnt(4)
	v_mul_f32_e32 v49, v46, v48
	v_fma_f32 v63, v45, v47, -v49
	v_or_b32_e32 v49, 0x60, v35
	v_mul_lo_u32 v55, v23, v49
	v_lshlrev_b32_sdwa v53, v32, v51 dst_sel:DWORD dst_unused:UNUSED_PAD src0_sel:DWORD src1_sel:BYTE_0
	v_lshlrev_b32_sdwa v54, v32, v51 dst_sel:DWORD dst_unused:UNUSED_PAD src0_sel:DWORD src1_sel:BYTE_1
	global_load_dwordx2 v[49:50], v53, s[4:5]
	global_load_dwordx2 v[51:52], v54, s[4:5] offset:2048
	v_mul_f32_e32 v58, v45, v48
	v_lshlrev_b32_sdwa v53, v32, v55 dst_sel:DWORD dst_unused:UNUSED_PAD src0_sel:DWORD src1_sel:BYTE_0
	v_fmac_f32_e32 v58, v46, v47
	v_lshlrev_b32_sdwa v54, v32, v55 dst_sel:DWORD dst_unused:UNUSED_PAD src0_sel:DWORD src1_sel:BYTE_1
	global_load_dwordx2 v[45:46], v53, s[4:5]
	global_load_dwordx2 v[47:48], v54, s[4:5] offset:2048
	v_add_u32_e32 v53, 0x78, v35
	v_mul_lo_u32 v53, v23, v53
	v_fma_f32 v14, v14, v57, -v17
	v_add_u32_e32 v35, 0x90, v35
	v_lshlrev_b32_sdwa v17, v32, v53 dst_sel:DWORD dst_unused:UNUSED_PAD src0_sel:DWORD src1_sel:BYTE_0
	v_lshlrev_b32_sdwa v57, v32, v53 dst_sel:DWORD dst_unused:UNUSED_PAD src0_sel:DWORD src1_sel:BYTE_1
	global_load_dwordx2 v[53:54], v17, s[4:5]
	global_load_dwordx2 v[55:56], v57, s[4:5] offset:2048
	v_mul_lo_u32 v17, v23, v35
	v_mul_f32_e32 v23, v18, v58
	v_mul_f32_e32 v57, v19, v58
	v_fma_f32 v58, v19, v63, -v23
	v_lshlrev_b32_sdwa v19, v32, v17 dst_sel:DWORD dst_unused:UNUSED_PAD src0_sel:DWORD src1_sel:BYTE_0
	v_lshlrev_b32_sdwa v17, v32, v17 dst_sel:DWORD dst_unused:UNUSED_PAD src0_sel:DWORD src1_sel:BYTE_1
	global_load_dwordx2 v[59:60], v19, s[4:5]
	global_load_dwordx2 v[61:62], v17, s[4:5] offset:2048
	v_fmac_f32_e32 v57, v18, v63
	s_movk_i32 s5, 0x112
	s_movk_i32 s4, 0x90
	s_waitcnt vmcnt(10)
	v_mul_f32_e32 v19, v37, v40
	v_mul_f32_e32 v17, v38, v40
	v_fmac_f32_e32 v19, v38, v39
	v_fma_f32 v18, v37, v39, -v17
	v_mul_f32_e32 v17, v36, v19
	v_mul_f32_e32 v19, v31, v19
	s_waitcnt vmcnt(8)
	v_mul_f32_e32 v23, v41, v44
	v_fmac_f32_e32 v17, v31, v18
	v_fma_f32 v18, v36, v18, -v19
	v_mul_f32_e32 v19, v42, v44
	v_fmac_f32_e32 v23, v42, v43
	v_fma_f32 v19, v41, v43, -v19
	v_mul_f32_e32 v31, v30, v23
	v_mul_f32_e32 v23, v29, v23
	v_fma_f32 v32, v30, v19, -v23
	s_waitcnt vmcnt(6)
	v_mul_f32_e32 v23, v49, v52
	v_fmac_f32_e32 v31, v29, v19
	v_mul_f32_e32 v19, v50, v52
	v_fmac_f32_e32 v23, v50, v51
	v_fma_f32 v19, v49, v51, -v19
	v_mul_f32_e32 v29, v28, v23
	v_mul_f32_e32 v23, v27, v23
	v_fma_f32 v30, v28, v19, -v23
	s_waitcnt vmcnt(4)
	v_mul_f32_e32 v23, v45, v48
	v_fmac_f32_e32 v29, v27, v19
	v_mul_f32_e32 v19, v46, v48
	v_fmac_f32_e32 v23, v46, v47
	v_fma_f32 v19, v45, v47, -v19
	v_mul_f32_e32 v27, v26, v23
	v_mul_f32_e32 v23, v25, v23
	v_fmac_f32_e32 v27, v25, v19
	v_fma_f32 v28, v26, v19, -v23
	s_waitcnt vmcnt(2)
	v_mul_f32_e32 v25, v53, v56
	v_mul_u32_u24_sdwa v26, v0, s5 dst_sel:DWORD dst_unused:UNUSED_PAD src0_sel:WORD_0 src1_sel:DWORD
	s_movk_i32 s5, 0xa8
	v_mul_f32_e32 v19, v54, v56
	v_fmac_f32_e32 v25, v54, v55
	v_mul_lo_u16_sdwa v26, v26, s5 dst_sel:DWORD dst_unused:UNUSED_PAD src0_sel:WORD_1 src1_sel:DWORD
	v_fma_f32 v23, v53, v55, -v19
	v_mul_f32_e32 v19, v24, v25
	v_add_u32_e32 v26, v34, v26
	v_fmac_f32_e32 v19, v20, v23
	v_mul_f32_e32 v20, v20, v25
	s_waitcnt vmcnt(0)
	v_mul_f32_e32 v25, v59, v62
	v_mul_lo_u32 v34, s12, v26
	v_fma_f32 v20, v24, v23, -v20
	v_mul_f32_e32 v23, v60, v62
	v_fmac_f32_e32 v25, v60, v61
	v_fma_f32 v24, v59, v61, -v23
	v_mul_f32_e32 v23, v16, v25
	v_fmac_f32_e32 v23, v15, v24
	v_mul_f32_e32 v15, v15, v25
	v_fma_f32 v24, v16, v24, -v15
	v_add_lshl_u32 v15, v21, v34, 3
	v_cndmask_b32_e64 v15, -1, v15, s[2:3]
	v_add_u32_e32 v16, 24, v26
	buffer_store_dwordx2 v[1:2], v15, s[8:11], s13 offen
	v_add_u32_e32 v1, 48, v26
	v_mul_lo_u32 v16, s12, v16
	v_mul_lo_u32 v1, s12, v1
	v_add_lshl_u32 v2, v21, v16, 3
	v_add_lshl_u32 v1, v21, v1, 3
	v_cndmask_b32_e64 v2, -1, v2, s[2:3]
	v_cndmask_b32_e64 v1, -1, v1, s[2:3]
	buffer_store_dwordx2 v[3:4], v2, s[8:11], s13 offen
	v_add_u32_e32 v2, 0x48, v26
	buffer_store_dwordx2 v[9:10], v1, s[8:11], s13 offen
	v_add_u32_e32 v1, 0x60, v26
	v_mul_lo_u32 v2, s12, v2
	v_mul_lo_u32 v1, s12, v1
	v_cndmask_b32_e64 v3, 0, 1, s[0:1]
	v_add_lshl_u32 v2, v21, v2, 3
	v_add_lshl_u32 v1, v21, v1, 3
	v_cndmask_b32_e64 v2, -1, v2, s[2:3]
	v_cndmask_b32_e64 v1, -1, v1, s[2:3]
	buffer_store_dwordx2 v[11:12], v2, s[8:11], s13 offen
	v_add_u32_e32 v2, 0x78, v26
	buffer_store_dwordx2 v[7:8], v1, s[8:11], s13 offen
	v_add_u32_e32 v1, 0x90, v26
	v_mul_lo_u32 v2, s12, v2
	v_mul_lo_u32 v1, s12, v1
	v_add_lshl_u32 v2, v21, v2, 3
	v_add_lshl_u32 v1, v21, v1, 3
	v_cndmask_b32_e64 v2, -1, v2, s[2:3]
	v_cndmask_b32_e64 v1, -1, v1, s[2:3]
	buffer_store_dwordx2 v[5:6], v2, s[8:11], s13 offen
	buffer_store_dwordx2 v[13:14], v1, s[8:11], s13 offen
	v_mad_u32_u24 v1, v33, s4, v22
	s_movk_i32 s2, 0x63
	v_mul_lo_u32 v2, s12, v1
	v_cmp_lt_u32_e64 s[2:3], s2, v0
	v_cmp_gt_u32_e64 s[4:5], s18, v0
	v_cndmask_b32_e64 v0, 0, 1, s[4:5]
	s_or_b64 vcc, s[2:3], vcc
	v_cndmask_b32_e32 v0, v3, v0, vcc
	v_and_b32_e32 v0, 1, v0
	v_add_lshl_u32 v2, v21, v2, 3
	v_cmp_eq_u32_e32 vcc, 1, v0
	v_cndmask_b32_e32 v0, -1, v2, vcc
	v_add_u32_e32 v2, 24, v1
	buffer_store_dwordx2 v[57:58], v0, s[8:11], s13 offen
	v_add_u32_e32 v0, 48, v1
	v_mul_lo_u32 v2, s12, v2
	v_mul_lo_u32 v0, s12, v0
	v_add_lshl_u32 v2, v21, v2, 3
	v_add_lshl_u32 v0, v21, v0, 3
	v_cndmask_b32_e32 v2, -1, v2, vcc
	v_cndmask_b32_e32 v0, -1, v0, vcc
	buffer_store_dwordx2 v[17:18], v2, s[8:11], s13 offen
	v_add_u32_e32 v2, 0x48, v1
	buffer_store_dwordx2 v[31:32], v0, s[8:11], s13 offen
	v_add_u32_e32 v0, 0x60, v1
	v_mul_lo_u32 v2, s12, v2
	v_mul_lo_u32 v0, s12, v0
	v_add_lshl_u32 v2, v21, v2, 3
	v_add_lshl_u32 v0, v21, v0, 3
	v_cndmask_b32_e32 v2, -1, v2, vcc
	v_cndmask_b32_e32 v0, -1, v0, vcc
	buffer_store_dwordx2 v[29:30], v2, s[8:11], s13 offen
	v_add_u32_e32 v2, 0x78, v1
	buffer_store_dwordx2 v[27:28], v0, s[8:11], s13 offen
	v_add_u32_e32 v0, 0x90, v1
	v_mul_lo_u32 v2, s12, v2
	v_mul_lo_u32 v0, s12, v0
	v_add_lshl_u32 v1, v21, v2, 3
	v_add_lshl_u32 v0, v21, v0, 3
	v_cndmask_b32_e32 v1, -1, v1, vcc
	v_cndmask_b32_e32 v0, -1, v0, vcc
	buffer_store_dwordx2 v[19:20], v1, s[8:11], s13 offen
	buffer_store_dwordx2 v[23:24], v0, s[8:11], s13 offen
	s_endpgm
	.section	.rodata,"a",@progbits
	.p2align	6, 0x0
	.amdhsa_kernel fft_rtc_back_len168_factors_2_3_4_7_wgs_140_tpt_14_dim2_sp_ip_CI_sbcc_twdbase8_2step_dirReg_intrinsicReadWrite
		.amdhsa_group_segment_fixed_size 0
		.amdhsa_private_segment_fixed_size 0
		.amdhsa_kernarg_size 88
		.amdhsa_user_sgpr_count 6
		.amdhsa_user_sgpr_private_segment_buffer 1
		.amdhsa_user_sgpr_dispatch_ptr 0
		.amdhsa_user_sgpr_queue_ptr 0
		.amdhsa_user_sgpr_kernarg_segment_ptr 1
		.amdhsa_user_sgpr_dispatch_id 0
		.amdhsa_user_sgpr_flat_scratch_init 0
		.amdhsa_user_sgpr_private_segment_size 0
		.amdhsa_uses_dynamic_stack 0
		.amdhsa_system_sgpr_private_segment_wavefront_offset 0
		.amdhsa_system_sgpr_workgroup_id_x 1
		.amdhsa_system_sgpr_workgroup_id_y 0
		.amdhsa_system_sgpr_workgroup_id_z 0
		.amdhsa_system_sgpr_workgroup_info 0
		.amdhsa_system_vgpr_workitem_id 0
		.amdhsa_next_free_vgpr 64
		.amdhsa_next_free_sgpr 23
		.amdhsa_reserve_vcc 1
		.amdhsa_reserve_flat_scratch 0
		.amdhsa_float_round_mode_32 0
		.amdhsa_float_round_mode_16_64 0
		.amdhsa_float_denorm_mode_32 3
		.amdhsa_float_denorm_mode_16_64 3
		.amdhsa_dx10_clamp 1
		.amdhsa_ieee_mode 1
		.amdhsa_fp16_overflow 0
		.amdhsa_exception_fp_ieee_invalid_op 0
		.amdhsa_exception_fp_denorm_src 0
		.amdhsa_exception_fp_ieee_div_zero 0
		.amdhsa_exception_fp_ieee_overflow 0
		.amdhsa_exception_fp_ieee_underflow 0
		.amdhsa_exception_fp_ieee_inexact 0
		.amdhsa_exception_int_div_zero 0
	.end_amdhsa_kernel
	.text
.Lfunc_end0:
	.size	fft_rtc_back_len168_factors_2_3_4_7_wgs_140_tpt_14_dim2_sp_ip_CI_sbcc_twdbase8_2step_dirReg_intrinsicReadWrite, .Lfunc_end0-fft_rtc_back_len168_factors_2_3_4_7_wgs_140_tpt_14_dim2_sp_ip_CI_sbcc_twdbase8_2step_dirReg_intrinsicReadWrite
                                        ; -- End function
	.section	.AMDGPU.csdata,"",@progbits
; Kernel info:
; codeLenInByte = 6476
; NumSgprs: 27
; NumVgprs: 64
; ScratchSize: 0
; MemoryBound: 0
; FloatMode: 240
; IeeeMode: 1
; LDSByteSize: 0 bytes/workgroup (compile time only)
; SGPRBlocks: 3
; VGPRBlocks: 15
; NumSGPRsForWavesPerEU: 27
; NumVGPRsForWavesPerEU: 64
; Occupancy: 4
; WaveLimiterHint : 0
; COMPUTE_PGM_RSRC2:SCRATCH_EN: 0
; COMPUTE_PGM_RSRC2:USER_SGPR: 6
; COMPUTE_PGM_RSRC2:TRAP_HANDLER: 0
; COMPUTE_PGM_RSRC2:TGID_X_EN: 1
; COMPUTE_PGM_RSRC2:TGID_Y_EN: 0
; COMPUTE_PGM_RSRC2:TGID_Z_EN: 0
; COMPUTE_PGM_RSRC2:TIDIG_COMP_CNT: 0
	.type	__hip_cuid_23a34ce323f7b7e0,@object ; @__hip_cuid_23a34ce323f7b7e0
	.section	.bss,"aw",@nobits
	.globl	__hip_cuid_23a34ce323f7b7e0
__hip_cuid_23a34ce323f7b7e0:
	.byte	0                               ; 0x0
	.size	__hip_cuid_23a34ce323f7b7e0, 1

	.ident	"AMD clang version 19.0.0git (https://github.com/RadeonOpenCompute/llvm-project roc-6.4.0 25133 c7fe45cf4b819c5991fe208aaa96edf142730f1d)"
	.section	".note.GNU-stack","",@progbits
	.addrsig
	.addrsig_sym __hip_cuid_23a34ce323f7b7e0
	.amdgpu_metadata
---
amdhsa.kernels:
  - .args:
      - .actual_access:  read_only
        .address_space:  global
        .offset:         0
        .size:           8
        .value_kind:     global_buffer
      - .address_space:  global
        .offset:         8
        .size:           8
        .value_kind:     global_buffer
      - .actual_access:  read_only
        .address_space:  global
        .offset:         16
        .size:           8
        .value_kind:     global_buffer
      - .actual_access:  read_only
        .address_space:  global
        .offset:         24
        .size:           8
        .value_kind:     global_buffer
      - .offset:         32
        .size:           8
        .value_kind:     by_value
      - .actual_access:  read_only
        .address_space:  global
        .offset:         40
        .size:           8
        .value_kind:     global_buffer
      - .actual_access:  read_only
        .address_space:  global
        .offset:         48
        .size:           8
        .value_kind:     global_buffer
      - .offset:         56
        .size:           4
        .value_kind:     by_value
      - .actual_access:  read_only
        .address_space:  global
        .offset:         64
        .size:           8
        .value_kind:     global_buffer
      - .actual_access:  read_only
        .address_space:  global
        .offset:         72
        .size:           8
        .value_kind:     global_buffer
      - .address_space:  global
        .offset:         80
        .size:           8
        .value_kind:     global_buffer
    .group_segment_fixed_size: 0
    .kernarg_segment_align: 8
    .kernarg_segment_size: 88
    .language:       OpenCL C
    .language_version:
      - 2
      - 0
    .max_flat_workgroup_size: 140
    .name:           fft_rtc_back_len168_factors_2_3_4_7_wgs_140_tpt_14_dim2_sp_ip_CI_sbcc_twdbase8_2step_dirReg_intrinsicReadWrite
    .private_segment_fixed_size: 0
    .sgpr_count:     27
    .sgpr_spill_count: 0
    .symbol:         fft_rtc_back_len168_factors_2_3_4_7_wgs_140_tpt_14_dim2_sp_ip_CI_sbcc_twdbase8_2step_dirReg_intrinsicReadWrite.kd
    .uniform_work_group_size: 1
    .uses_dynamic_stack: false
    .vgpr_count:     64
    .vgpr_spill_count: 0
    .wavefront_size: 64
amdhsa.target:   amdgcn-amd-amdhsa--gfx906
amdhsa.version:
  - 1
  - 2
...

	.end_amdgpu_metadata
